;; amdgpu-corpus repo=ROCm/rocFFT kind=compiled arch=gfx1030 opt=O3
	.text
	.amdgcn_target "amdgcn-amd-amdhsa--gfx1030"
	.amdhsa_code_object_version 6
	.protected	fft_rtc_fwd_len44_factors_11_4_wgs_64_tpt_4_halfLds_half_op_CI_CI_unitstride_sbrr_dirReg ; -- Begin function fft_rtc_fwd_len44_factors_11_4_wgs_64_tpt_4_halfLds_half_op_CI_CI_unitstride_sbrr_dirReg
	.globl	fft_rtc_fwd_len44_factors_11_4_wgs_64_tpt_4_halfLds_half_op_CI_CI_unitstride_sbrr_dirReg
	.p2align	8
	.type	fft_rtc_fwd_len44_factors_11_4_wgs_64_tpt_4_halfLds_half_op_CI_CI_unitstride_sbrr_dirReg,@function
fft_rtc_fwd_len44_factors_11_4_wgs_64_tpt_4_halfLds_half_op_CI_CI_unitstride_sbrr_dirReg: ; @fft_rtc_fwd_len44_factors_11_4_wgs_64_tpt_4_halfLds_half_op_CI_CI_unitstride_sbrr_dirReg
; %bb.0:
	s_clause 0x2
	s_load_dwordx4 s[8:11], s[4:5], 0x0
	s_load_dwordx4 s[12:15], s[4:5], 0x58
	;; [unrolled: 1-line block ×3, first 2 shown]
	v_lshrrev_b32_e32 v11, 2, v0
	v_mov_b32_e32 v7, 0
	v_mov_b32_e32 v5, 0
	;; [unrolled: 1-line block ×3, first 2 shown]
	v_lshl_or_b32 v9, s6, 4, v11
	v_mov_b32_e32 v10, v7
	s_waitcnt lgkmcnt(0)
	v_cmp_lt_u64_e64 s0, s[10:11], 2
	s_and_b32 vcc_lo, exec_lo, s0
	s_cbranch_vccnz .LBB0_8
; %bb.1:
	s_load_dwordx2 s[0:1], s[4:5], 0x10
	v_mov_b32_e32 v5, 0
	v_mov_b32_e32 v6, 0
	s_add_u32 s2, s18, 8
	s_addc_u32 s3, s19, 0
	v_mov_b32_e32 v1, v5
	s_add_u32 s6, s16, 8
	v_mov_b32_e32 v2, v6
	s_addc_u32 s7, s17, 0
	s_mov_b64 s[22:23], 1
	s_waitcnt lgkmcnt(0)
	s_add_u32 s20, s0, 8
	s_addc_u32 s21, s1, 0
.LBB0_2:                                ; =>This Inner Loop Header: Depth=1
	s_load_dwordx2 s[24:25], s[20:21], 0x0
                                        ; implicit-def: $vgpr3_vgpr4
	s_mov_b32 s0, exec_lo
	s_waitcnt lgkmcnt(0)
	v_or_b32_e32 v8, s25, v10
	v_cmpx_ne_u64_e32 0, v[7:8]
	s_xor_b32 s1, exec_lo, s0
	s_cbranch_execz .LBB0_4
; %bb.3:                                ;   in Loop: Header=BB0_2 Depth=1
	v_cvt_f32_u32_e32 v3, s24
	v_cvt_f32_u32_e32 v4, s25
	s_sub_u32 s0, 0, s24
	s_subb_u32 s26, 0, s25
	v_fmac_f32_e32 v3, 0x4f800000, v4
	v_rcp_f32_e32 v3, v3
	v_mul_f32_e32 v3, 0x5f7ffffc, v3
	v_mul_f32_e32 v4, 0x2f800000, v3
	v_trunc_f32_e32 v4, v4
	v_fmac_f32_e32 v3, 0xcf800000, v4
	v_cvt_u32_f32_e32 v4, v4
	v_cvt_u32_f32_e32 v3, v3
	v_mul_lo_u32 v8, s0, v4
	v_mul_hi_u32 v12, s0, v3
	v_mul_lo_u32 v13, s26, v3
	v_add_nc_u32_e32 v8, v12, v8
	v_mul_lo_u32 v12, s0, v3
	v_add_nc_u32_e32 v8, v8, v13
	v_mul_hi_u32 v13, v3, v12
	v_mul_lo_u32 v14, v3, v8
	v_mul_hi_u32 v15, v3, v8
	v_mul_hi_u32 v16, v4, v12
	v_mul_lo_u32 v12, v4, v12
	v_mul_hi_u32 v17, v4, v8
	v_mul_lo_u32 v8, v4, v8
	v_add_co_u32 v13, vcc_lo, v13, v14
	v_add_co_ci_u32_e32 v14, vcc_lo, 0, v15, vcc_lo
	v_add_co_u32 v12, vcc_lo, v13, v12
	v_add_co_ci_u32_e32 v12, vcc_lo, v14, v16, vcc_lo
	v_add_co_ci_u32_e32 v13, vcc_lo, 0, v17, vcc_lo
	v_add_co_u32 v8, vcc_lo, v12, v8
	v_add_co_ci_u32_e32 v12, vcc_lo, 0, v13, vcc_lo
	v_add_co_u32 v3, vcc_lo, v3, v8
	v_add_co_ci_u32_e32 v4, vcc_lo, v4, v12, vcc_lo
	v_mul_hi_u32 v8, s0, v3
	v_mul_lo_u32 v13, s26, v3
	v_mul_lo_u32 v12, s0, v4
	v_add_nc_u32_e32 v8, v8, v12
	v_mul_lo_u32 v12, s0, v3
	v_add_nc_u32_e32 v8, v8, v13
	v_mul_hi_u32 v13, v3, v12
	v_mul_lo_u32 v14, v3, v8
	v_mul_hi_u32 v15, v3, v8
	v_mul_hi_u32 v16, v4, v12
	v_mul_lo_u32 v12, v4, v12
	v_mul_hi_u32 v17, v4, v8
	v_mul_lo_u32 v8, v4, v8
	v_add_co_u32 v13, vcc_lo, v13, v14
	v_add_co_ci_u32_e32 v14, vcc_lo, 0, v15, vcc_lo
	v_add_co_u32 v12, vcc_lo, v13, v12
	v_add_co_ci_u32_e32 v12, vcc_lo, v14, v16, vcc_lo
	v_add_co_ci_u32_e32 v13, vcc_lo, 0, v17, vcc_lo
	v_add_co_u32 v8, vcc_lo, v12, v8
	v_add_co_ci_u32_e32 v12, vcc_lo, 0, v13, vcc_lo
	v_add_co_u32 v8, vcc_lo, v3, v8
	v_add_co_ci_u32_e32 v14, vcc_lo, v4, v12, vcc_lo
	v_mul_hi_u32 v16, v9, v8
	v_mad_u64_u32 v[12:13], null, v10, v8, 0
	v_mad_u64_u32 v[3:4], null, v9, v14, 0
	;; [unrolled: 1-line block ×3, first 2 shown]
	v_add_co_u32 v3, vcc_lo, v16, v3
	v_add_co_ci_u32_e32 v4, vcc_lo, 0, v4, vcc_lo
	v_add_co_u32 v3, vcc_lo, v3, v12
	v_add_co_ci_u32_e32 v3, vcc_lo, v4, v13, vcc_lo
	v_add_co_ci_u32_e32 v4, vcc_lo, 0, v15, vcc_lo
	v_add_co_u32 v8, vcc_lo, v3, v14
	v_add_co_ci_u32_e32 v12, vcc_lo, 0, v4, vcc_lo
	v_mul_lo_u32 v13, s25, v8
	v_mad_u64_u32 v[3:4], null, s24, v8, 0
	v_mul_lo_u32 v14, s24, v12
	v_sub_co_u32 v3, vcc_lo, v9, v3
	v_add3_u32 v4, v4, v14, v13
	v_sub_nc_u32_e32 v13, v10, v4
	v_subrev_co_ci_u32_e64 v13, s0, s25, v13, vcc_lo
	v_add_co_u32 v14, s0, v8, 2
	v_add_co_ci_u32_e64 v15, s0, 0, v12, s0
	v_sub_co_u32 v16, s0, v3, s24
	v_sub_co_ci_u32_e32 v4, vcc_lo, v10, v4, vcc_lo
	v_subrev_co_ci_u32_e64 v13, s0, 0, v13, s0
	v_cmp_le_u32_e32 vcc_lo, s24, v16
	v_cmp_eq_u32_e64 s0, s25, v4
	v_cndmask_b32_e64 v16, 0, -1, vcc_lo
	v_cmp_le_u32_e32 vcc_lo, s25, v13
	v_cndmask_b32_e64 v17, 0, -1, vcc_lo
	v_cmp_le_u32_e32 vcc_lo, s24, v3
	;; [unrolled: 2-line block ×3, first 2 shown]
	v_cndmask_b32_e64 v18, 0, -1, vcc_lo
	v_cmp_eq_u32_e32 vcc_lo, s25, v13
	v_cndmask_b32_e64 v3, v18, v3, s0
	v_cndmask_b32_e32 v13, v17, v16, vcc_lo
	v_add_co_u32 v16, vcc_lo, v8, 1
	v_add_co_ci_u32_e32 v17, vcc_lo, 0, v12, vcc_lo
	v_cmp_ne_u32_e32 vcc_lo, 0, v13
	v_cndmask_b32_e32 v4, v17, v15, vcc_lo
	v_cndmask_b32_e32 v13, v16, v14, vcc_lo
	v_cmp_ne_u32_e32 vcc_lo, 0, v3
	v_cndmask_b32_e32 v4, v12, v4, vcc_lo
	v_cndmask_b32_e32 v3, v8, v13, vcc_lo
.LBB0_4:                                ;   in Loop: Header=BB0_2 Depth=1
	s_andn2_saveexec_b32 s0, s1
	s_cbranch_execz .LBB0_6
; %bb.5:                                ;   in Loop: Header=BB0_2 Depth=1
	v_cvt_f32_u32_e32 v3, s24
	s_sub_i32 s1, 0, s24
	v_rcp_iflag_f32_e32 v3, v3
	v_mul_f32_e32 v3, 0x4f7ffffe, v3
	v_cvt_u32_f32_e32 v3, v3
	v_mul_lo_u32 v4, s1, v3
	v_mul_hi_u32 v4, v3, v4
	v_add_nc_u32_e32 v3, v3, v4
	v_mul_hi_u32 v3, v9, v3
	v_mul_lo_u32 v4, v3, s24
	v_add_nc_u32_e32 v8, 1, v3
	v_sub_nc_u32_e32 v4, v9, v4
	v_subrev_nc_u32_e32 v12, s24, v4
	v_cmp_le_u32_e32 vcc_lo, s24, v4
	v_cndmask_b32_e32 v4, v4, v12, vcc_lo
	v_cndmask_b32_e32 v3, v3, v8, vcc_lo
	v_cmp_le_u32_e32 vcc_lo, s24, v4
	v_add_nc_u32_e32 v8, 1, v3
	v_mov_b32_e32 v4, v7
	v_cndmask_b32_e32 v3, v3, v8, vcc_lo
.LBB0_6:                                ;   in Loop: Header=BB0_2 Depth=1
	s_or_b32 exec_lo, exec_lo, s0
	v_mul_lo_u32 v8, v4, s24
	v_mul_lo_u32 v14, v3, s25
	s_load_dwordx2 s[0:1], s[6:7], 0x0
	v_mad_u64_u32 v[12:13], null, v3, s24, 0
	s_load_dwordx2 s[24:25], s[2:3], 0x0
	s_add_u32 s22, s22, 1
	s_addc_u32 s23, s23, 0
	s_add_u32 s2, s2, 8
	s_addc_u32 s3, s3, 0
	s_add_u32 s6, s6, 8
	v_add3_u32 v8, v13, v14, v8
	v_sub_co_u32 v9, vcc_lo, v9, v12
	s_addc_u32 s7, s7, 0
	s_add_u32 s20, s20, 8
	v_sub_co_ci_u32_e32 v8, vcc_lo, v10, v8, vcc_lo
	s_addc_u32 s21, s21, 0
	s_waitcnt lgkmcnt(0)
	v_mul_lo_u32 v10, s0, v8
	v_mul_lo_u32 v12, s1, v9
	v_mad_u64_u32 v[5:6], null, s0, v9, v[5:6]
	v_mul_lo_u32 v8, s24, v8
	v_mul_lo_u32 v13, s25, v9
	v_mad_u64_u32 v[1:2], null, s24, v9, v[1:2]
	v_cmp_ge_u64_e64 s0, s[22:23], s[10:11]
	v_add3_u32 v6, v12, v6, v10
	v_add3_u32 v2, v13, v2, v8
	s_and_b32 vcc_lo, exec_lo, s0
	s_cbranch_vccnz .LBB0_9
; %bb.7:                                ;   in Loop: Header=BB0_2 Depth=1
	v_mov_b32_e32 v10, v4
	v_mov_b32_e32 v9, v3
	s_branch .LBB0_2
.LBB0_8:
	v_mov_b32_e32 v1, v5
	v_mov_b32_e32 v3, v9
	;; [unrolled: 1-line block ×4, first 2 shown]
.LBB0_9:
	s_load_dwordx2 s[0:1], s[4:5], 0x28
	s_lshl_b64 s[4:5], s[10:11], 3
	v_and_b32_e32 v7, 3, v0
	s_add_u32 s2, s18, s4
	s_addc_u32 s3, s19, s5
                                        ; implicit-def: $sgpr6
                                        ; implicit-def: $vgpr9
                                        ; implicit-def: $vgpr8
	s_waitcnt lgkmcnt(0)
	v_cmp_gt_u64_e32 vcc_lo, s[0:1], v[3:4]
	v_cmp_le_u64_e64 s0, s[0:1], v[3:4]
	s_and_saveexec_b32 s1, s0
	s_xor_b32 s0, exec_lo, s1
; %bb.10:
	v_and_b32_e32 v7, 3, v0
	s_mov_b32 s6, 0
                                        ; implicit-def: $vgpr5_vgpr6
	v_or_b32_e32 v9, 4, v7
	v_or_b32_e32 v8, 8, v7
; %bb.11:
	s_or_saveexec_b32 s1, s0
	v_mov_b32_e32 v0, s6
                                        ; implicit-def: $vgpr39
                                        ; implicit-def: $vgpr22
                                        ; implicit-def: $vgpr38
                                        ; implicit-def: $vgpr26
                                        ; implicit-def: $vgpr36
                                        ; implicit-def: $vgpr23
                                        ; implicit-def: $vgpr35
                                        ; implicit-def: $vgpr24
                                        ; implicit-def: $vgpr16
                                        ; implicit-def: $vgpr14
                                        ; implicit-def: $vgpr18
                                        ; implicit-def: $vgpr15
                                        ; implicit-def: $vgpr31
                                        ; implicit-def: $vgpr34
                                        ; implicit-def: $vgpr28
                                        ; implicit-def: $vgpr37
                                        ; implicit-def: $vgpr21
                                        ; implicit-def: $vgpr40
                                        ; implicit-def: $vgpr20
                                        ; implicit-def: $vgpr41
	s_xor_b32 exec_lo, exec_lo, s1
	s_cbranch_execz .LBB0_13
; %bb.12:
	s_add_u32 s4, s16, s4
	s_addc_u32 s5, s17, s5
	v_lshlrev_b64 v[5:6], 2, v[5:6]
	s_load_dwordx2 s[4:5], s[4:5], 0x0
	s_waitcnt lgkmcnt(0)
	v_mul_lo_u32 v0, s5, v3
	v_mul_lo_u32 v10, s4, v4
	v_mad_u64_u32 v[8:9], null, s4, v3, 0
	v_add3_u32 v9, v9, v10, v0
	v_lshlrev_b64 v[8:9], 2, v[8:9]
	v_add_co_u32 v0, s0, s12, v8
	v_add_co_ci_u32_e64 v8, s0, s13, v9, s0
	v_lshlrev_b32_e32 v9, 2, v7
	v_add_co_u32 v0, s0, v0, v5
	v_add_co_ci_u32_e64 v6, s0, v8, v6, s0
	v_or_b32_e32 v8, 8, v7
	v_add_co_u32 v5, s0, v0, v9
	v_add_co_ci_u32_e64 v6, s0, 0, v6, s0
	v_or_b32_e32 v9, 4, v7
	s_clause 0xa
	global_load_dword v22, v[5:6], off offset:16
	global_load_dword v26, v[5:6], off offset:32
	;; [unrolled: 1-line block ×10, first 2 shown]
	global_load_dword v0, v[5:6], off
	s_waitcnt vmcnt(10)
	v_lshrrev_b32_e32 v39, 16, v22
	s_waitcnt vmcnt(9)
	v_lshrrev_b32_e32 v38, 16, v26
	;; [unrolled: 2-line block ×10, first 2 shown]
.LBB0_13:
	s_or_b32 exec_lo, exec_lo, s1
	s_waitcnt vmcnt(0)
	v_add_f16_e32 v5, v22, v0
	v_sub_f16_e32 v10, v39, v20
	v_add_f16_e32 v6, v22, v41
	v_sub_f16_e32 v12, v38, v21
	v_mul_u32_u24_e32 v13, 44, v11
	v_add_f16_e32 v5, v26, v5
	v_mul_f16_e32 v33, 0xb482, v10
	v_add_f16_e32 v11, v26, v40
	v_sub_f16_e32 v19, v36, v28
	v_mul_f16_e32 v43, 0x3853, v12
	v_add_f16_e32 v5, v23, v5
	v_fma_f16 v48, v6, 0xbbad, -v33
	v_add_f16_e32 v17, v23, v37
	v_sub_f16_e32 v27, v35, v31
	v_mul_f16_e32 v45, 0xba0c, v19
	v_add_f16_e32 v5, v24, v5
	v_fma_f16 v51, v11, 0x3abb, -v43
	v_add_f16_e32 v48, v48, v0
	v_add_f16_e32 v25, v24, v34
	v_mul_f16_e32 v46, 0x3b47, v27
	v_add_f16_e32 v5, v14, v5
	v_pk_mul_f16 v49, 0x36a63abb, v6 op_sel_hi:[1,0]
	v_fma_f16 v53, v17, 0xb93d, -v45
	v_add_f16_e32 v48, v51, v48
	v_sub_f16_e32 v30, v16, v18
	v_add_f16_e32 v5, v15, v5
	v_pk_mul_f16 v50, 0xb93d36a6, v11 op_sel_hi:[1,0]
	v_pk_fma_f16 v54, 0xbb47b853, v10, v49 op_sel_hi:[1,0,1] neg_lo:[0,1,0] neg_hi:[0,1,0]
	v_fma_f16 v51, v25, 0x36a6, -v46
	v_add_f16_e32 v48, v53, v48
	v_add_f16_e32 v5, v34, v5
	;; [unrolled: 1-line block ×3, first 2 shown]
	v_mul_f16_e32 v47, 0xbbeb, v30
	v_pk_mul_f16 v52, 0xbbadb08e, v17 op_sel_hi:[1,0]
	v_pk_fma_f16 v55, 0xba0cbb47, v12, v50 op_sel_hi:[1,0,1] neg_lo:[0,1,0] neg_hi:[0,1,0]
	v_add_f16_e32 v5, v37, v5
	v_pk_add_f16 v54, v54, v0 op_sel_hi:[1,0]
	v_add_f16_e32 v48, v51, v48
	v_pk_mul_f16 v57, 0xba0cbbeb, v10 op_sel_hi:[1,0]
	v_mul_f16_e32 v32, 0xbbad, v6
	v_add_f16_e32 v5, v40, v5
	v_fma_f16 v53, v29, 0xb08e, -v47
	v_pk_fma_f16 v56, 0x3482bbeb, v19, v52 op_sel_hi:[1,0,1] neg_lo:[0,1,0] neg_hi:[0,1,0]
	v_pk_add_f16 v54, v55, v54
	v_pk_mul_f16 v55, 0xb08eb93d, v25 op_sel_hi:[1,0]
	v_add_f16_e32 v51, v41, v5
	v_pk_mul_f16 v5, 0xb93db08e, v6 op_sel_hi:[1,0]
	v_pk_fma_f16 v6, 0xb93db08e, v6, v57 op_sel_hi:[1,0,1] neg_lo:[0,0,1] neg_hi:[0,0,1]
	v_pk_mul_f16 v59, 0xb08ebbad, v11 op_sel_hi:[1,0]
	v_pk_mul_f16 v60, 0x3beb3482, v12 op_sel_hi:[1,0]
	v_mul_f16_e32 v42, 0x3abb, v11
	v_add_f16_e32 v58, v57, v5
	v_add_f16_e32 v48, v53, v48
	v_pk_add_f16 v53, v56, v54
	v_pk_fma_f16 v54, 0x3bebba0c, v27, v55 op_sel_hi:[1,0,1] neg_lo:[0,1,0] neg_hi:[0,1,0]
	v_pk_mul_f16 v56, 0x3abbbbad, v29 op_sel_hi:[1,0]
	v_add_f16_e32 v58, v58, v0
	v_pk_add_f16 v6, v6, v0 op_sel_hi:[1,0]
	v_add_f16_e32 v61, v60, v59
	v_pk_fma_f16 v11, 0xb08ebbad, v11, v60 op_sel_hi:[1,0,1] neg_lo:[0,0,1] neg_hi:[0,0,1]
	v_pk_mul_f16 v62, 0x3abb36a6, v17 op_sel_hi:[1,0]
	v_pk_mul_f16 v63, 0xb8533b47, v19 op_sel_hi:[1,0]
	v_bfi_b32 v33, 0xffff, v33, v57
	v_bfi_b32 v5, 0xffff, v32, v5
	v_pk_fma_f16 v10, 0xbb47b853, v10, v49 op_sel_hi:[1,0,1]
	v_mul_f16_e32 v44, 0xb93d, v17
	v_pk_add_f16 v53, v54, v53
	v_pk_fma_f16 v54, 0x3853b482, v30, v56 op_sel_hi:[1,0,1] neg_lo:[0,1,0] neg_hi:[0,1,0]
	v_add_f16_e32 v58, v61, v58
	v_pk_add_f16 v6, v11, v6
	v_add_f16_e32 v11, v63, v62
	v_pk_add_f16 v33, v33, v5
	v_bfi_b32 v43, 0xffff, v43, v60
	v_bfi_b32 v42, 0xffff, v42, v59
	v_pk_add_f16 v10, v10, v0 op_sel_hi:[1,0]
	v_pk_fma_f16 v12, 0xba0cbb47, v12, v50 op_sel_hi:[1,0,1]
	v_pk_add_f16 v53, v54, v53
	v_mul_f16_e32 v54, 0x36a6, v25
	v_add_f16_e32 v11, v11, v58
	v_pk_fma_f16 v17, 0x3abb36a6, v17, v63 op_sel_hi:[1,0,1] neg_lo:[0,0,1] neg_hi:[0,0,1]
	v_pk_mul_f16 v32, 0xbbad3abb, v25 op_sel_hi:[1,0]
	v_pk_mul_f16 v58, 0xb482b853, v27 op_sel_hi:[1,0]
	v_pk_add_f16 v33, v33, v0 op_sel_hi:[1,0]
	v_pk_add_f16 v42, v43, v42
	v_bfi_b32 v43, 0xffff, v45, v63
	v_bfi_b32 v44, 0xffff, v44, v62
	v_pk_add_f16 v10, v12, v10
	v_pk_fma_f16 v12, 0x3482bbeb, v19, v52 op_sel_hi:[1,0,1]
	v_mul_f16_e32 v61, 0xb08e, v29
	v_pk_add_f16 v6, v17, v6
	v_add_f16_e32 v17, v58, v32
	v_pk_fma_f16 v25, 0xbbad3abb, v25, v58 op_sel_hi:[1,0,1] neg_lo:[0,0,1] neg_hi:[0,0,1]
	v_pk_mul_f16 v45, 0x36a6b93d, v29 op_sel_hi:[1,0]
	v_pk_add_f16 v33, v42, v33
	v_pk_add_f16 v42, v43, v44
	v_bfi_b32 v43, 0xffff, v46, v58
	v_bfi_b32 v32, 0xffff, v54, v32
	v_pk_mul_f16 v44, 0x3b47ba0c, v30 op_sel_hi:[1,0]
	v_pk_add_f16 v10, v12, v10
	v_pk_fma_f16 v12, 0x3bebba0c, v27, v55 op_sel_hi:[1,0,1]
	v_pk_add_f16 v19, v42, v33
	v_pk_add_f16 v32, v43, v32
	v_bfi_b32 v33, 0xffff, v47, v44
	v_bfi_b32 v42, 0xffff, v61, v45
	v_pk_add_f16 v6, v25, v6
	v_pk_fma_f16 v25, 0x36a6b93d, v29, v44 op_sel_hi:[1,0,1] neg_lo:[0,0,1] neg_hi:[0,0,1]
	v_pk_add_f16 v10, v12, v10
	v_pk_fma_f16 v12, 0x3853b482, v30, v56 op_sel_hi:[1,0,1]
	v_lshl_add_u32 v57, v13, 1, 0
	v_pk_add_f16 v19, v32, v19
	v_pk_add_f16 v27, v33, v42
	;; [unrolled: 1-line block ×3, first 2 shown]
	v_add_f16_e32 v17, v17, v11
	v_add_f16_e32 v25, v44, v45
	v_pk_add_f16 v11, v12, v10
	v_mad_u32_u24 v5, v7, 22, v57
	v_pk_add_f16 v45, v27, v19
	v_alignbit_b32 v44, v48, v6, 16
	v_alignbit_b32 v43, v6, v53, 16
	v_pack_b32_f16 v42, v51, v53
	v_add_f16_e32 v10, v25, v17
	v_alignbit_b32 v6, v11, v11, 16
	s_load_dwordx2 s[2:3], s[2:3], 0x0
	ds_write_b128 v5, v[42:45]
	ds_write_b16 v5, v10 offset:16
	ds_write_b32 v5, v6 offset:18
	v_lshl_add_u32 v42, v7, 1, v57
	v_mad_i32_i24 v6, 0xffffffec, v7, v5
	s_waitcnt lgkmcnt(0)
	s_barrier
	buffer_gl0_inv
	v_lshl_add_u32 v43, v9, 1, v57
	ds_read_u16 v17, v42
	ds_read_u16 v25, v6 offset:22
	ds_read_u16 v30, v6 offset:30
	;; [unrolled: 1-line block ×6, first 2 shown]
	ds_read_u16 v19, v43
	v_cmp_eq_u32_e64 s0, 3, v7
	v_cmp_ne_u32_e64 s1, 3, v7
	v_lshrrev_b32_e32 v12, 16, v11
	v_lshlrev_b32_e32 v44, 1, v8
	v_lshlrev_b32_e32 v45, 1, v13
                                        ; implicit-def: $vgpr13
	s_and_saveexec_b32 s4, s1
	s_cbranch_execz .LBB0_15
; %bb.14:
	v_add3_u32 v10, 0, v44, v45
	ds_read_u16 v12, v6 offset:38
	ds_read_u16 v11, v6 offset:60
	ds_read_u16 v10, v10
	ds_read_u16 v13, v6 offset:82
.LBB0_15:
	s_or_b32 exec_lo, exec_lo, s4
	v_add_f16_sdwa v46, v39, v0 dst_sel:DWORD dst_unused:UNUSED_PAD src0_sel:DWORD src1_sel:WORD_1
	v_sub_f16_e32 v22, v22, v41
	v_add_f16_e32 v41, v38, v21
	v_sub_f16_e32 v24, v24, v34
	v_add_f16_e32 v39, v39, v20
	v_add_f16_e32 v38, v38, v46
	v_sub_f16_e32 v26, v26, v40
	v_pk_mul_f16 v51, 0xbb47b853, v22 op_sel_hi:[1,0]
	v_sub_f16_e32 v23, v23, v37
	v_add_f16_e32 v37, v35, v31
	v_add_f16_e32 v34, v36, v38
	v_mul_f16_e32 v38, 0xb482, v22
	v_mul_f16_e32 v47, 0x3853, v26
	v_pk_mul_f16 v52, 0xba0cbb47, v26 op_sel_hi:[1,0]
	v_pk_fma_f16 v58, 0x36a63abb, v39, v51 op_sel_hi:[1,0,1]
	v_add_f16_e32 v34, v35, v34
	v_fmamk_f16 v54, v39, 0xbbad, v38
	v_fmamk_f16 v56, v41, 0x3abb, v47
	v_add_f16_e32 v40, v36, v28
	v_pk_mul_f16 v53, 0x3482bbeb, v23 op_sel_hi:[1,0]
	v_add_f16_e32 v34, v16, v34
	v_add_f16_sdwa v54, v54, v0 dst_sel:DWORD dst_unused:UNUSED_PAD src0_sel:DWORD src1_sel:WORD_1
	v_pk_fma_f16 v59, 0xb93d36a6, v41, v52 op_sel_hi:[1,0,1]
	v_pk_fma_f16 v51, 0x36a63abb, v39, v51 op_sel_hi:[1,0,1] neg_lo:[0,0,1] neg_hi:[0,0,1]
	v_mul_f16_e32 v48, 0xba0c, v23
	v_add_f16_e32 v34, v18, v34
	v_add_f16_e32 v54, v56, v54
	v_pk_add_f16 v56, v58, v0 op_sel:[0,1]
	v_pk_add_f16 v51, v51, v0 op_sel:[0,1]
	v_pk_mul_f16 v22, 0xba0cbbeb, v22 op_sel_hi:[1,0]
	v_add_f16_e32 v31, v31, v34
	v_mul_f16_e32 v36, 0xbbad, v39
	v_mul_f16_e32 v50, 0x3b47, v24
	v_pk_mul_f16 v55, 0x3bebba0c, v24 op_sel_hi:[1,0]
	v_fmamk_f16 v57, v40, 0xb93d, v48
	v_add_f16_e32 v28, v28, v31
	v_pk_fma_f16 v31, 0xbbadb08e, v40, v53 op_sel_hi:[1,0,1]
	v_sub_f16_e32 v14, v14, v15
	v_pk_mul_f16 v26, 0x3beb3482, v26 op_sel_hi:[1,0]
	v_mul_f16_e32 v46, 0x3abb, v41
	v_add_f16_e32 v21, v21, v28
	v_pk_fma_f16 v28, 0xb93d36a6, v41, v52 op_sel_hi:[1,0,1] neg_lo:[0,0,1] neg_hi:[0,0,1]
	v_pk_add_f16 v52, v59, v56
	v_fmamk_f16 v34, v37, 0x36a6, v50
	v_add_f16_e32 v54, v57, v54
	v_add_f16_e32 v20, v20, v21
	v_pk_add_f16 v21, v28, v51
	v_pk_add_f16 v15, v31, v52
	v_pk_fma_f16 v28, 0xbbadb08e, v40, v53 op_sel_hi:[1,0,1] neg_lo:[0,0,1] neg_hi:[0,0,1]
	v_pk_mul_f16 v31, 0xb93db08e, v39 op_sel_hi:[1,0]
	v_pk_fma_f16 v39, 0xb93db08e, v39, v22 op_sel_hi:[1,0,1]
	v_pk_mul_f16 v52, 0xb08ebbad, v41 op_sel_hi:[1,0]
	v_pk_mul_f16 v23, 0xb8533b47, v23 op_sel_hi:[1,0]
	v_pk_add_f16 v21, v28, v21
	v_pk_fma_f16 v28, 0xb08eb93d, v37, v55 op_sel_hi:[1,0,1] neg_lo:[0,0,1] neg_hi:[0,0,1]
	v_sub_f16_e32 v51, v31, v22
	v_pk_add_f16 v39, v39, v0 op_sel:[0,1]
	v_pk_fma_f16 v41, 0xb08ebbad, v41, v26 op_sel_hi:[1,0,1]
	v_bfi_b32 v31, 0xffff, v36, v31
	v_bfi_b32 v22, 0xffff, v38, v22
	v_mul_f16_e32 v35, 0xb93d, v40
	v_add_f16_e32 v34, v34, v54
	v_pk_add_f16 v21, v28, v21
	v_add_f16_sdwa v28, v51, v0 dst_sel:DWORD dst_unused:UNUSED_PAD src0_sel:DWORD src1_sel:WORD_1
	v_sub_f16_e32 v51, v52, v26
	v_pk_mul_f16 v54, 0x3abb36a6, v40 op_sel_hi:[1,0]
	v_pk_mul_f16 v24, 0xb482b853, v24 op_sel_hi:[1,0]
	v_pk_add_f16 v36, v41, v39
	v_pk_fma_f16 v38, 0x3abb36a6, v40, v23 op_sel_hi:[1,0,1]
	v_pk_add_f16 v22, v31, v22 neg_lo:[0,1] neg_hi:[0,1]
	v_bfi_b32 v31, 0xffff, v46, v52
	v_bfi_b32 v26, 0xffff, v47, v26
	v_mul_f16_e32 v49, 0x36a6, v37
	v_add_f16_e32 v16, v16, v18
	v_pk_fma_f16 v18, 0xb08eb93d, v37, v55 op_sel_hi:[1,0,1]
	v_add_f16_e32 v28, v51, v28
	v_sub_f16_e32 v51, v54, v23
	v_pk_mul_f16 v55, 0xbbad3abb, v37 op_sel_hi:[1,0]
	v_pk_add_f16 v36, v38, v36
	v_pk_fma_f16 v37, 0xbbad3abb, v37, v24 op_sel_hi:[1,0,1]
	v_pk_add_f16 v0, v22, v0 op_sel:[0,1]
	v_pk_add_f16 v22, v31, v26 neg_lo:[0,1] neg_hi:[0,1]
	v_bfi_b32 v26, 0xffff, v35, v54
	v_bfi_b32 v23, 0xffff, v48, v23
	v_pk_add_f16 v15, v18, v15
	v_pk_mul_f16 v18, 0x3853b482, v14 op_sel_hi:[1,0]
	v_sub_f16_e32 v39, v55, v24
	v_pk_add_f16 v31, v37, v36
	v_pk_mul_f16 v35, 0x36a6b93d, v16 op_sel_hi:[1,0]
	v_pk_mul_f16 v36, 0x3b47ba0c, v14 op_sel_hi:[1,0]
	v_pk_add_f16 v0, v22, v0
	v_pk_add_f16 v22, v26, v23 neg_lo:[0,1] neg_hi:[0,1]
	v_bfi_b32 v23, 0xffff, v49, v55
	v_bfi_b32 v24, 0xffff, v50, v24
	v_mul_f16_e32 v26, 0xb08e, v16
	v_mul_f16_e32 v14, 0xbbeb, v14
	v_pk_fma_f16 v53, 0x3abbbbad, v16, v18 op_sel_hi:[1,0,1]
	v_pk_fma_f16 v37, 0x36a6b93d, v16, v36 op_sel_hi:[1,0,1]
	v_pk_add_f16 v0, v22, v0
	v_pk_add_f16 v22, v23, v24 neg_lo:[0,1] neg_hi:[0,1]
	v_bfi_b32 v23, 0xffff, v26, v35
	v_bfi_b32 v24, 0xffff, v14, v36
	v_fmamk_f16 v14, v16, 0xb08e, v14
	v_add_f16_e32 v28, v51, v28
	v_pk_fma_f16 v18, 0x3abbbbad, v16, v18 op_sel_hi:[1,0,1] neg_lo:[0,0,1] neg_hi:[0,0,1]
	v_pk_add_f16 v26, v37, v31
	v_pk_add_f16 v0, v22, v0
	v_pk_add_f16 v22, v23, v24 neg_lo:[0,1] neg_hi:[0,1]
	v_add_f16_e32 v24, v14, v34
	v_pk_add_f16 v31, v53, v15
	v_add_f16_e32 v28, v39, v28
	v_sub_f16_e32 v16, v35, v36
	v_pk_add_f16 v15, v18, v21
	v_pk_add_f16 v23, v22, v0
	v_alignbit_b32 v22, v24, v26, 16
	v_alignbit_b32 v21, v26, v31, 16
	v_pack_b32_f16 v20, v20, v31
	v_add_f16_e32 v14, v16, v28
	v_alignbit_b32 v0, v15, v15, 16
	s_waitcnt lgkmcnt(0)
	s_barrier
	buffer_gl0_inv
	ds_write_b128 v5, v[20:23]
	ds_write_b16 v5, v14 offset:16
	ds_write_b32 v5, v0 offset:18
	s_waitcnt lgkmcnt(0)
	s_barrier
	buffer_gl0_inv
	ds_read_u16 v20, v42
	ds_read_u16 v22, v6 offset:22
	ds_read_u16 v26, v6 offset:30
	;; [unrolled: 1-line block ×6, first 2 shown]
	ds_read_u16 v21, v43
	v_lshrrev_b32_e32 v16, 16, v15
                                        ; implicit-def: $vgpr18
	s_and_saveexec_b32 s4, s1
	s_cbranch_execz .LBB0_17
; %bb.16:
	v_add3_u32 v0, 0, v44, v45
	ds_read_u16 v16, v6 offset:38
	ds_read_u16 v15, v6 offset:60
	ds_read_u16 v14, v0
	ds_read_u16 v18, v6 offset:82
.LBB0_17:
	s_or_b32 exec_lo, exec_lo, s4
	s_and_saveexec_b32 s1, vcc_lo
	s_cbranch_execz .LBB0_20
; %bb.18:
	v_mul_i32_i24_e32 v5, 3, v9
	v_mov_b32_e32 v6, 0
	v_mul_u32_u24_e32 v0, 3, v7
	v_mul_hi_u32 v9, 0xba2e8ba3, v7
	v_mul_lo_u32 v40, s3, v3
	v_mul_lo_u32 v41, s2, v4
	v_lshlrev_b64 v[34:35], 2, v[5:6]
	v_lshlrev_b32_e32 v0, 2, v0
	v_add_nc_u32_e32 v5, 4, v7
	v_mad_u64_u32 v[3:4], null, s2, v3, 0
	v_add_co_u32 v34, vcc_lo, s8, v34
	v_add_co_ci_u32_e32 v35, vcc_lo, s9, v35, vcc_lo
	global_load_dwordx3 v[37:39], v0, s[8:9]
	v_mul_hi_u32 v0, 0xba2e8ba3, v5
	v_add3_u32 v4, v4, v41, v40
	global_load_dwordx3 v[34:36], v[34:35], off
	v_lshlrev_b64 v[40:41], 2, v[1:2]
	v_lshlrev_b64 v[2:3], 2, v[3:4]
	v_lshrrev_b32_e32 v42, 3, v0
	v_lshrrev_b32_e32 v0, 3, v9
	v_mul_lo_u32 v9, v42, 11
	v_mul_lo_u32 v43, v0, 11
	v_add_nc_u32_e32 v0, 8, v7
	v_cmp_gt_u32_e32 vcc_lo, 11, v0
	v_sub_nc_u32_e32 v1, v5, v9
	v_sub_nc_u32_e32 v9, v7, v43
	v_mad_u64_u32 v[4:5], null, v42, 44, v[1:2]
	v_add_co_u32 v1, s1, s14, v2
	v_add_co_ci_u32_e64 v3, s1, s15, v3, s1
	v_lshlrev_b32_e32 v9, 2, v9
	v_add_co_u32 v2, s1, v1, v40
	v_add_co_ci_u32_e64 v3, s1, v3, v41, s1
	v_mov_b32_e32 v5, v6
	v_add_co_u32 v42, s1, v2, v9
	v_add_co_ci_u32_e64 v43, s1, 0, v3, s1
	v_lshlrev_b64 v[40:41], 2, v[4:5]
	v_add_nc_u32_e32 v5, 11, v4
	v_lshlrev_b64 v[44:45], 2, v[5:6]
	v_add_nc_u32_e32 v5, 22, v4
	v_add_co_u32 v40, s1, v2, v40
	v_add_co_ci_u32_e64 v41, s1, v3, v41, s1
	v_lshlrev_b64 v[46:47], 2, v[5:6]
	v_add_nc_u32_e32 v5, 33, v4
	v_add_co_u32 v44, s1, v2, v44
	v_add_co_ci_u32_e64 v45, s1, v3, v45, s1
	v_lshlrev_b64 v[4:5], 2, v[5:6]
	v_add_co_u32 v46, s1, v2, v46
	v_add_co_ci_u32_e64 v47, s1, v3, v47, s1
	v_add_co_u32 v4, s1, v2, v4
	v_add_co_ci_u32_e64 v5, s1, v3, v5, s1
	s_waitcnt vmcnt(1) lgkmcnt(4)
	v_mul_f16_sdwa v52, v23, v38 dst_sel:DWORD dst_unused:UNUSED_PAD src0_sel:DWORD src1_sel:WORD_1
	v_mul_f16_sdwa v53, v25, v37 dst_sel:DWORD dst_unused:UNUSED_PAD src0_sel:DWORD src1_sel:WORD_1
	;; [unrolled: 1-line block ×3, first 2 shown]
	s_waitcnt vmcnt(0)
	v_mul_f16_sdwa v9, v30, v34 dst_sel:DWORD dst_unused:UNUSED_PAD src0_sel:DWORD src1_sel:WORD_1
	v_mul_f16_sdwa v49, v33, v35 dst_sel:DWORD dst_unused:UNUSED_PAD src0_sel:DWORD src1_sel:WORD_1
	;; [unrolled: 1-line block ×3, first 2 shown]
	s_waitcnt lgkmcnt(1)
	v_mul_f16_sdwa v51, v31, v36 dst_sel:DWORD dst_unused:UNUSED_PAD src0_sel:DWORD src1_sel:WORD_1
	v_mul_f16_sdwa v55, v29, v38 dst_sel:DWORD dst_unused:UNUSED_PAD src0_sel:DWORD src1_sel:WORD_1
	v_mul_f16_sdwa v56, v22, v37 dst_sel:DWORD dst_unused:UNUSED_PAD src0_sel:DWORD src1_sel:WORD_1
	v_mul_f16_sdwa v57, v24, v39 dst_sel:DWORD dst_unused:UNUSED_PAD src0_sel:DWORD src1_sel:WORD_1
	v_mul_f16_sdwa v1, v28, v35 dst_sel:DWORD dst_unused:UNUSED_PAD src0_sel:DWORD src1_sel:WORD_1
	v_mul_f16_sdwa v48, v32, v36 dst_sel:DWORD dst_unused:UNUSED_PAD src0_sel:DWORD src1_sel:WORD_1
	v_fmac_f16_e32 v9, v26, v34
	v_fmac_f16_e32 v49, v28, v35
	v_fma_f16 v26, v30, v34, -v50
	v_fma_f16 v28, v32, v36, -v51
	;; [unrolled: 1-line block ×3, first 2 shown]
	v_fmac_f16_e32 v53, v22, v37
	v_fmac_f16_e32 v54, v24, v39
	;; [unrolled: 1-line block ×3, first 2 shown]
	v_fma_f16 v22, v25, v37, -v56
	v_fma_f16 v23, v27, v39, -v57
	;; [unrolled: 1-line block ×3, first 2 shown]
	v_fmac_f16_e32 v48, v31, v36
	s_waitcnt lgkmcnt(0)
	v_sub_f16_e32 v25, v21, v49
	v_sub_f16_e32 v27, v26, v28
	;; [unrolled: 1-line block ×8, first 2 shown]
	v_add_f16_e32 v32, v25, v27
	v_fma_f16 v26, v26, 2.0, -v27
	v_add_f16_e32 v27, v30, v23
	v_fma_f16 v17, v17, 2.0, -v28
	v_fma_f16 v22, v22, 2.0, -v23
	;; [unrolled: 1-line block ×7, first 2 shown]
	v_sub_f16_e32 v31, v1, v24
	v_sub_f16_e32 v24, v28, v29
	;; [unrolled: 1-line block ×6, first 2 shown]
	v_fma_f16 v28, v28, 2.0, -v24
	v_fma_f16 v29, v30, 2.0, -v27
	;; [unrolled: 1-line block ×8, first 2 shown]
	v_pack_b32_f16 v24, v24, v27
	v_pack_b32_f16 v28, v28, v29
	v_pack_b32_f16 v22, v22, v23
	v_pack_b32_f16 v17, v17, v20
	v_pack_b32_f16 v19, v19, v21
	v_pack_b32_f16 v1, v1, v25
	v_pack_b32_f16 v27, v31, v32
	global_store_dword v[42:43], v24, off offset:132
	v_pack_b32_f16 v9, v26, v9
	global_store_dword v[42:43], v28, off offset:44
	global_store_dword v[42:43], v22, off offset:88
	global_store_dword v[42:43], v17, off
	global_store_dword v[40:41], v19, off
	;; [unrolled: 1-line block ×5, first 2 shown]
	s_and_b32 exec_lo, exec_lo, vcc_lo
	s_cbranch_execz .LBB0_20
; %bb.19:
	v_mul_i32_i24_e32 v1, 3, v8
	v_cndmask_b32_e64 v5, v1, 0, s0
	v_mov_b32_e32 v1, v6
	v_lshlrev_b64 v[4:5], 2, v[5:6]
	v_lshlrev_b64 v[0:1], 2, v[0:1]
	v_add_co_u32 v4, vcc_lo, s8, v4
	v_add_co_ci_u32_e32 v5, vcc_lo, s9, v5, vcc_lo
	v_add_co_u32 v0, vcc_lo, v2, v0
	v_add_co_ci_u32_e32 v1, vcc_lo, v3, v1, vcc_lo
	global_load_dwordx3 v[19:21], v[4:5], off
	v_add_nc_u32_e32 v5, 19, v7
	v_lshlrev_b64 v[8:9], 2, v[5:6]
	v_add_nc_u32_e32 v5, 30, v7
	v_lshlrev_b64 v[22:23], 2, v[5:6]
	s_waitcnt vmcnt(0)
	v_mul_f16_sdwa v4, v16, v19 dst_sel:DWORD dst_unused:UNUSED_PAD src0_sel:DWORD src1_sel:WORD_1
	v_mul_f16_sdwa v17, v12, v19 dst_sel:DWORD dst_unused:UNUSED_PAD src0_sel:DWORD src1_sel:WORD_1
	;; [unrolled: 1-line block ×6, first 2 shown]
	v_fma_f16 v4, v12, v19, -v4
	v_fmac_f16_e32 v17, v16, v19
	v_fma_f16 v11, v11, v20, -v5
	v_fmac_f16_e32 v24, v15, v20
	;; [unrolled: 2-line block ×3, first 2 shown]
	v_add_nc_u32_e32 v5, 41, v7
	v_sub_f16_e32 v11, v10, v11
	v_sub_f16_e32 v13, v14, v24
	;; [unrolled: 1-line block ×4, first 2 shown]
	v_add_co_u32 v7, vcc_lo, v2, v8
	v_add_co_ci_u32_e32 v8, vcc_lo, v3, v9, vcc_lo
	v_fma_f16 v16, v10, 2.0, -v11
	v_fma_f16 v14, v14, 2.0, -v13
	;; [unrolled: 1-line block ×4, first 2 shown]
	v_lshlrev_b64 v[4:5], 2, v[5:6]
	v_sub_f16_e32 v6, v11, v15
	v_add_f16_e32 v12, v13, v12
	v_sub_f16_e32 v15, v16, v9
	v_sub_f16_e32 v17, v14, v10
	v_add_co_u32 v9, vcc_lo, v2, v22
	v_fma_f16 v11, v11, 2.0, -v6
	v_fma_f16 v13, v13, 2.0, -v12
	;; [unrolled: 1-line block ×4, first 2 shown]
	v_add_co_ci_u32_e32 v10, vcc_lo, v3, v23, vcc_lo
	v_add_co_u32 v2, vcc_lo, v2, v4
	v_pack_b32_f16 v4, v11, v13
	v_add_co_ci_u32_e32 v3, vcc_lo, v3, v5, vcc_lo
	v_pack_b32_f16 v5, v15, v17
	v_pack_b32_f16 v11, v16, v14
	;; [unrolled: 1-line block ×3, first 2 shown]
	global_store_dword v[7:8], v4, off
	global_store_dword v[9:10], v5, off
	;; [unrolled: 1-line block ×4, first 2 shown]
.LBB0_20:
	s_endpgm
	.section	.rodata,"a",@progbits
	.p2align	6, 0x0
	.amdhsa_kernel fft_rtc_fwd_len44_factors_11_4_wgs_64_tpt_4_halfLds_half_op_CI_CI_unitstride_sbrr_dirReg
		.amdhsa_group_segment_fixed_size 0
		.amdhsa_private_segment_fixed_size 0
		.amdhsa_kernarg_size 104
		.amdhsa_user_sgpr_count 6
		.amdhsa_user_sgpr_private_segment_buffer 1
		.amdhsa_user_sgpr_dispatch_ptr 0
		.amdhsa_user_sgpr_queue_ptr 0
		.amdhsa_user_sgpr_kernarg_segment_ptr 1
		.amdhsa_user_sgpr_dispatch_id 0
		.amdhsa_user_sgpr_flat_scratch_init 0
		.amdhsa_user_sgpr_private_segment_size 0
		.amdhsa_wavefront_size32 1
		.amdhsa_uses_dynamic_stack 0
		.amdhsa_system_sgpr_private_segment_wavefront_offset 0
		.amdhsa_system_sgpr_workgroup_id_x 1
		.amdhsa_system_sgpr_workgroup_id_y 0
		.amdhsa_system_sgpr_workgroup_id_z 0
		.amdhsa_system_sgpr_workgroup_info 0
		.amdhsa_system_vgpr_workitem_id 0
		.amdhsa_next_free_vgpr 64
		.amdhsa_next_free_sgpr 27
		.amdhsa_reserve_vcc 1
		.amdhsa_reserve_flat_scratch 0
		.amdhsa_float_round_mode_32 0
		.amdhsa_float_round_mode_16_64 0
		.amdhsa_float_denorm_mode_32 3
		.amdhsa_float_denorm_mode_16_64 3
		.amdhsa_dx10_clamp 1
		.amdhsa_ieee_mode 1
		.amdhsa_fp16_overflow 0
		.amdhsa_workgroup_processor_mode 1
		.amdhsa_memory_ordered 1
		.amdhsa_forward_progress 0
		.amdhsa_shared_vgpr_count 0
		.amdhsa_exception_fp_ieee_invalid_op 0
		.amdhsa_exception_fp_denorm_src 0
		.amdhsa_exception_fp_ieee_div_zero 0
		.amdhsa_exception_fp_ieee_overflow 0
		.amdhsa_exception_fp_ieee_underflow 0
		.amdhsa_exception_fp_ieee_inexact 0
		.amdhsa_exception_int_div_zero 0
	.end_amdhsa_kernel
	.text
.Lfunc_end0:
	.size	fft_rtc_fwd_len44_factors_11_4_wgs_64_tpt_4_halfLds_half_op_CI_CI_unitstride_sbrr_dirReg, .Lfunc_end0-fft_rtc_fwd_len44_factors_11_4_wgs_64_tpt_4_halfLds_half_op_CI_CI_unitstride_sbrr_dirReg
                                        ; -- End function
	.section	.AMDGPU.csdata,"",@progbits
; Kernel info:
; codeLenInByte = 5136
; NumSgprs: 29
; NumVgprs: 64
; ScratchSize: 0
; MemoryBound: 0
; FloatMode: 240
; IeeeMode: 1
; LDSByteSize: 0 bytes/workgroup (compile time only)
; SGPRBlocks: 3
; VGPRBlocks: 7
; NumSGPRsForWavesPerEU: 29
; NumVGPRsForWavesPerEU: 64
; Occupancy: 16
; WaveLimiterHint : 1
; COMPUTE_PGM_RSRC2:SCRATCH_EN: 0
; COMPUTE_PGM_RSRC2:USER_SGPR: 6
; COMPUTE_PGM_RSRC2:TRAP_HANDLER: 0
; COMPUTE_PGM_RSRC2:TGID_X_EN: 1
; COMPUTE_PGM_RSRC2:TGID_Y_EN: 0
; COMPUTE_PGM_RSRC2:TGID_Z_EN: 0
; COMPUTE_PGM_RSRC2:TIDIG_COMP_CNT: 0
	.text
	.p2alignl 6, 3214868480
	.fill 48, 4, 3214868480
	.type	__hip_cuid_a7ff6315fd82a724,@object ; @__hip_cuid_a7ff6315fd82a724
	.section	.bss,"aw",@nobits
	.globl	__hip_cuid_a7ff6315fd82a724
__hip_cuid_a7ff6315fd82a724:
	.byte	0                               ; 0x0
	.size	__hip_cuid_a7ff6315fd82a724, 1

	.ident	"AMD clang version 19.0.0git (https://github.com/RadeonOpenCompute/llvm-project roc-6.4.0 25133 c7fe45cf4b819c5991fe208aaa96edf142730f1d)"
	.section	".note.GNU-stack","",@progbits
	.addrsig
	.addrsig_sym __hip_cuid_a7ff6315fd82a724
	.amdgpu_metadata
---
amdhsa.kernels:
  - .args:
      - .actual_access:  read_only
        .address_space:  global
        .offset:         0
        .size:           8
        .value_kind:     global_buffer
      - .offset:         8
        .size:           8
        .value_kind:     by_value
      - .actual_access:  read_only
        .address_space:  global
        .offset:         16
        .size:           8
        .value_kind:     global_buffer
      - .actual_access:  read_only
        .address_space:  global
        .offset:         24
        .size:           8
        .value_kind:     global_buffer
      - .actual_access:  read_only
        .address_space:  global
        .offset:         32
        .size:           8
        .value_kind:     global_buffer
      - .offset:         40
        .size:           8
        .value_kind:     by_value
      - .actual_access:  read_only
        .address_space:  global
        .offset:         48
        .size:           8
        .value_kind:     global_buffer
      - .actual_access:  read_only
        .address_space:  global
        .offset:         56
        .size:           8
        .value_kind:     global_buffer
      - .offset:         64
        .size:           4
        .value_kind:     by_value
      - .actual_access:  read_only
        .address_space:  global
        .offset:         72
        .size:           8
        .value_kind:     global_buffer
      - .actual_access:  read_only
        .address_space:  global
        .offset:         80
        .size:           8
        .value_kind:     global_buffer
      - .actual_access:  read_only
        .address_space:  global
        .offset:         88
        .size:           8
        .value_kind:     global_buffer
      - .actual_access:  write_only
        .address_space:  global
        .offset:         96
        .size:           8
        .value_kind:     global_buffer
    .group_segment_fixed_size: 0
    .kernarg_segment_align: 8
    .kernarg_segment_size: 104
    .language:       OpenCL C
    .language_version:
      - 2
      - 0
    .max_flat_workgroup_size: 64
    .name:           fft_rtc_fwd_len44_factors_11_4_wgs_64_tpt_4_halfLds_half_op_CI_CI_unitstride_sbrr_dirReg
    .private_segment_fixed_size: 0
    .sgpr_count:     29
    .sgpr_spill_count: 0
    .symbol:         fft_rtc_fwd_len44_factors_11_4_wgs_64_tpt_4_halfLds_half_op_CI_CI_unitstride_sbrr_dirReg.kd
    .uniform_work_group_size: 1
    .uses_dynamic_stack: false
    .vgpr_count:     64
    .vgpr_spill_count: 0
    .wavefront_size: 32
    .workgroup_processor_mode: 1
amdhsa.target:   amdgcn-amd-amdhsa--gfx1030
amdhsa.version:
  - 1
  - 2
...

	.end_amdgpu_metadata
